;; amdgpu-corpus repo=zjin-lcf/HeCBench kind=compiled arch=gfx1100 opt=O3
	.text
	.amdgcn_target "amdgcn-amd-amdhsa--gfx1100"
	.amdhsa_code_object_version 6
	.protected	_Z15gaussian_kernelPKhPhii ; -- Begin function _Z15gaussian_kernelPKhPhii
	.globl	_Z15gaussian_kernelPKhPhii
	.p2align	8
	.type	_Z15gaussian_kernelPKhPhii,@function
_Z15gaussian_kernelPKhPhii:             ; @_Z15gaussian_kernelPKhPhii
; %bb.0:
	s_clause 0x1
	s_load_b32 s4, s[0:1], 0x24
	s_load_b32 s5, s[0:1], 0x14
	v_bfe_u32 v9, v0, 10, 10
	v_and_b32_e32 v12, 0x3ff, v0
	s_mov_b32 s7, 0
	s_mov_b32 s6, exec_lo
                                        ; implicit-def: $vgpr14
	s_delay_alu instid0(VALU_DEP_2) | instskip(NEXT) | instid1(VALU_DEP_2)
	v_add_nc_u32_e32 v4, 1, v9
	v_add_nc_u32_e32 v11, 1, v12
	s_waitcnt lgkmcnt(0)
	s_lshr_b32 s2, s4, 16
	s_and_b32 s4, s4, 0xffff
	v_mad_u64_u32 v[1:2], null, s15, s2, v[4:5]
	s_load_b64 s[2:3], s[0:1], 0x0
	s_mul_i32 s14, s14, s4
	s_add_i32 s10, s4, 2
	s_delay_alu instid0(SALU_CYCLE_1) | instskip(NEXT) | instid1(VALU_DEP_2)
	v_mul_u32_u24_e32 v8, s10, v4
	v_mul_lo_u32 v0, v1, s5
	s_delay_alu instid0(VALU_DEP_2) | instskip(NEXT) | instid1(VALU_DEP_1)
	v_lshl_add_u32 v10, v8, 2, 0
	v_lshl_add_u32 v3, v12, 2, v10
	s_delay_alu instid0(VALU_DEP_3) | instskip(NEXT) | instid1(VALU_DEP_1)
	v_add3_u32 v6, s14, v11, v0
	v_ashrrev_i32_e32 v7, 31, v6
	s_waitcnt lgkmcnt(0)
	v_add_co_u32 v0, vcc_lo, s2, v6
	s_delay_alu instid0(VALU_DEP_2)
	v_add_co_ci_u32_e32 v1, vcc_lo, s3, v7, vcc_lo
	global_load_u8 v2, v[0:1], off
	s_waitcnt vmcnt(0)
	ds_store_b32 v3, v2 offset:4
                                        ; implicit-def: $vgpr2_vgpr3
	v_cmpx_ne_u32_e32 0, v9
	s_xor_b32 s6, exec_lo, s6
	s_cbranch_execnz .LBB0_11
; %bb.1:
	s_or_saveexec_b32 s6, s6
	v_lshl_add_u32 v13, v12, 2, 0
	s_xor_b32 exec_lo, exec_lo, s6
	s_cbranch_execnz .LBB0_20
.LBB0_2:
	s_or_b32 exec_lo, exec_lo, s6
	s_and_saveexec_b32 s2, s7
	s_cbranch_execz .LBB0_4
.LBB0_3:
	global_load_u8 v2, v[2:3], off
	s_waitcnt vmcnt(0)
	ds_store_b32 v14, v2
.LBB0_4:
	s_or_b32 exec_lo, exec_lo, s2
	s_load_b64 s[8:9], s[0:1], 0x8
	v_mov_b32_e32 v2, -1
	v_mov_b32_e32 v3, -1
	s_mov_b32 s1, 0
	s_mov_b32 s2, -1
	s_mov_b32 s0, exec_lo
	v_cmpx_ne_u32_e32 0, v12
	s_cbranch_execz .LBB0_8
; %bb.5:
	v_mov_b32_e32 v2, -1
	v_mov_b32_e32 v3, -1
	s_mov_b32 s2, exec_lo
	v_cmpx_eq_u32_e64 s4, v11
; %bb.6:
	s_lshl_b32 s3, s4, 2
	v_mov_b32_e32 v2, 1
	v_mov_b32_e32 v3, 0
	v_add3_u32 v10, v10, s3, 4
	s_mov_b32 s1, exec_lo
; %bb.7:
	s_or_b32 exec_lo, exec_lo, s2
	s_delay_alu instid0(SALU_CYCLE_1)
	s_or_not1_b32 s2, s1, exec_lo
.LBB0_8:
	s_or_b32 exec_lo, exec_lo, s0
	s_and_saveexec_b32 s0, s2
	s_cbranch_execz .LBB0_10
; %bb.9:
	v_add_co_u32 v0, vcc_lo, v0, v2
	v_add_co_ci_u32_e32 v1, vcc_lo, v1, v3, vcc_lo
	global_load_u8 v0, v[0:1], off
	s_waitcnt vmcnt(0)
	ds_store_b32 v10, v0
.LBB0_10:
	s_or_b32 exec_lo, exec_lo, s0
	v_mul_u32_u24_e32 v0, s10, v9
	s_waitcnt lgkmcnt(0)
	s_barrier
	buffer_gl0_inv
	s_getpc_b64 s[12:13]
	s_add_u32 s12, s12, c_gaus@rel32@lo+4
	s_addc_u32 s13, s13, c_gaus@rel32@hi+12
	v_lshl_add_u32 v2, v0, 2, v13
	s_load_b256 s[0:7], s[12:13], 0x0
	v_lshl_add_u32 v5, v8, 2, v13
	ds_load_2addr_b32 v[0:1], v2 offset1:1
	ds_load_b32 v3, v2 offset:8
	v_lshl_add_u32 v8, s10, 3, v2
	s_waitcnt lgkmcnt(0)
	v_cvt_f32_i32_e32 v0, v0
	v_cvt_f32_i32_e32 v1, v1
	;; [unrolled: 1-line block ×3, first 2 shown]
	s_delay_alu instid0(VALU_DEP_3) | instskip(SKIP_1) | instid1(VALU_DEP_1)
	v_fma_f32 v0, s0, v0, 0
	s_load_b32 s0, s[12:13], 0x20
	v_cvt_i32_f32_e32 v0, v0
	s_delay_alu instid0(VALU_DEP_1) | instskip(NEXT) | instid1(VALU_DEP_1)
	v_cvt_f32_i32_e32 v4, v0
	v_fmac_f32_e32 v4, s1, v1
	ds_load_2addr_b32 v[0:1], v5 offset1:1
	v_cvt_i32_f32_e32 v4, v4
	s_delay_alu instid0(VALU_DEP_1) | instskip(NEXT) | instid1(VALU_DEP_1)
	v_cvt_f32_i32_e32 v4, v4
	v_fmac_f32_e32 v4, s2, v3
	ds_load_b32 v5, v5 offset:8
	ds_load_2addr_b32 v[2:3], v8 offset1:1
	ds_load_b32 v8, v8 offset:8
	v_cvt_i32_f32_e32 v4, v4
	s_waitcnt lgkmcnt(0)
	v_cvt_f32_i32_e32 v0, v0
	v_cvt_f32_i32_e32 v1, v1
	s_delay_alu instid0(VALU_DEP_3) | instskip(NEXT) | instid1(VALU_DEP_1)
	v_cvt_f32_i32_e32 v4, v4
	v_fmac_f32_e32 v4, s3, v0
	s_delay_alu instid0(VALU_DEP_1) | instskip(NEXT) | instid1(VALU_DEP_1)
	v_cvt_i32_f32_e32 v0, v4
	v_cvt_f32_i32_e32 v0, v0
	s_delay_alu instid0(VALU_DEP_1) | instskip(SKIP_1) | instid1(VALU_DEP_2)
	v_fmac_f32_e32 v0, s4, v1
	v_cvt_f32_i32_e32 v1, v5
	v_cvt_i32_f32_e32 v0, v0
	s_delay_alu instid0(VALU_DEP_1) | instskip(NEXT) | instid1(VALU_DEP_1)
	v_cvt_f32_i32_e32 v0, v0
	v_fmac_f32_e32 v0, s5, v1
	v_cvt_f32_i32_e32 v1, v2
	s_delay_alu instid0(VALU_DEP_2) | instskip(NEXT) | instid1(VALU_DEP_1)
	v_cvt_i32_f32_e32 v0, v0
	v_cvt_f32_i32_e32 v0, v0
	s_delay_alu instid0(VALU_DEP_1) | instskip(SKIP_1) | instid1(VALU_DEP_2)
	v_fmac_f32_e32 v0, s6, v1
	v_cvt_f32_i32_e32 v1, v3
	v_cvt_i32_f32_e32 v0, v0
	s_delay_alu instid0(VALU_DEP_1) | instskip(NEXT) | instid1(VALU_DEP_1)
	v_cvt_f32_i32_e32 v0, v0
	v_fmac_f32_e32 v0, s7, v1
	v_cvt_f32_i32_e32 v1, v8
	s_delay_alu instid0(VALU_DEP_2) | instskip(NEXT) | instid1(VALU_DEP_1)
	v_cvt_i32_f32_e32 v0, v0
	v_cvt_f32_i32_e32 v0, v0
	s_delay_alu instid0(VALU_DEP_1) | instskip(NEXT) | instid1(VALU_DEP_1)
	v_fmac_f32_e32 v0, s0, v1
	v_cvt_i32_f32_e32 v0, v0
	s_delay_alu instid0(VALU_DEP_1)
	v_med3_i32 v2, v0, 0, 0xff
	v_add_co_u32 v0, vcc_lo, s8, v6
	v_add_co_ci_u32_e32 v1, vcc_lo, s9, v7, vcc_lo
	global_store_b8 v[0:1], v2, off
	s_nop 0
	s_sendmsg sendmsg(MSG_DEALLOC_VGPRS)
	s_endpgm
.LBB0_11:
	s_mov_b32 s8, 0
	s_mov_b32 s7, exec_lo
                                        ; implicit-def: $vgpr14
                                        ; implicit-def: $vgpr2_vgpr3
	v_cmpx_eq_u32_e64 s4, v4
	s_cbranch_execz .LBB0_19
; %bb.12:
	s_ashr_i32 s8, s5, 31
	v_add_co_u32 v4, vcc_lo, v0, s5
	v_add_co_ci_u32_e32 v5, vcc_lo, s8, v1, vcc_lo
	s_add_i32 s8, s4, 1
	s_mov_b32 s9, 0
	s_mul_i32 s8, s8, s10
	global_load_u8 v2, v[4:5], off
	s_lshl_b32 s8, s8, 2
	s_mov_b32 s11, exec_lo
	s_add_i32 s8, s8, 0
                                        ; implicit-def: $sgpr12
	s_delay_alu instid0(SALU_CYCLE_1)
	v_lshl_add_u32 v3, v12, 2, s8
	s_waitcnt vmcnt(0)
	ds_store_b32 v3, v2 offset:4
                                        ; implicit-def: $vgpr2_vgpr3
	v_cmpx_ne_u32_e32 0, v12
	s_xor_b32 s11, exec_lo, s11
	s_cbranch_execz .LBB0_16
; %bb.13:
	s_mov_b32 s13, exec_lo
                                        ; implicit-def: $sgpr12
                                        ; implicit-def: $vgpr2_vgpr3
	v_cmpx_eq_u32_e64 s4, v11
	s_xor_b32 s13, exec_lo, s13
; %bb.14:
	v_add_co_u32 v2, vcc_lo, v4, 1
	s_lshl_b32 s12, s4, 2
	v_add_co_ci_u32_e32 v3, vcc_lo, 0, v5, vcc_lo
	s_add_i32 s12, s8, s12
	s_mov_b32 s9, exec_lo
	s_add_i32 s12, s12, 4
; %bb.15:
	s_or_b32 exec_lo, exec_lo, s13
	s_delay_alu instid0(SALU_CYCLE_1)
	s_and_b32 s9, s9, exec_lo
                                        ; implicit-def: $vgpr4
.LBB0_16:
	s_or_saveexec_b32 s11, s11
	v_mov_b32_e32 v14, s12
	s_xor_b32 exec_lo, exec_lo, s11
; %bb.17:
	v_add_co_u32 v2, vcc_lo, v4, -1
	v_add_co_ci_u32_e32 v3, vcc_lo, -1, v5, vcc_lo
	v_mov_b32_e32 v14, s8
	s_or_b32 s9, s9, exec_lo
; %bb.18:
	s_or_b32 exec_lo, exec_lo, s11
	s_delay_alu instid0(SALU_CYCLE_1)
	s_and_b32 s8, s9, exec_lo
.LBB0_19:
	s_or_b32 exec_lo, exec_lo, s7
	s_delay_alu instid0(SALU_CYCLE_1)
	s_and_b32 s7, s8, exec_lo
	s_or_saveexec_b32 s6, s6
	v_lshl_add_u32 v13, v12, 2, 0
	s_xor_b32 exec_lo, exec_lo, s6
	s_cbranch_execz .LBB0_2
.LBB0_20:
	v_subrev_nc_u32_e32 v2, s5, v6
	s_mov_b32 s5, exec_lo
	s_delay_alu instid0(VALU_DEP_1) | instskip(SKIP_2) | instid1(VALU_DEP_2)
	v_ashrrev_i32_e32 v3, 31, v2
	v_add_co_u32 v4, vcc_lo, s2, v2
	s_mov_b32 s2, s7
	v_add_co_ci_u32_e32 v5, vcc_lo, s3, v3, vcc_lo
                                        ; implicit-def: $sgpr3
	global_load_u8 v2, v[4:5], off
	s_waitcnt vmcnt(0)
	ds_store_b32 v13, v2 offset:4
                                        ; implicit-def: $vgpr2_vgpr3
	v_cmpx_ne_u32_e32 0, v12
	s_xor_b32 s5, exec_lo, s5
	s_cbranch_execz .LBB0_24
; %bb.21:
	s_mov_b32 s2, s7
	s_mov_b32 s8, exec_lo
                                        ; implicit-def: $sgpr3
                                        ; implicit-def: $vgpr2_vgpr3
	v_cmpx_eq_u32_e64 s4, v11
	s_xor_b32 s8, exec_lo, s8
; %bb.22:
	s_lshl_b32 s2, s4, 2
	v_add_co_u32 v2, vcc_lo, v4, 1
	s_add_i32 s2, s2, 0
	v_add_co_ci_u32_e32 v3, vcc_lo, 0, v5, vcc_lo
	s_add_i32 s3, s2, 4
	s_or_b32 s2, s7, exec_lo
; %bb.23:
	s_or_b32 exec_lo, exec_lo, s8
	s_delay_alu instid0(SALU_CYCLE_1) | instskip(SKIP_1) | instid1(SALU_CYCLE_1)
	s_and_not1_b32 s8, s7, exec_lo
	s_and_b32 s2, s2, exec_lo
                                        ; implicit-def: $vgpr4
	s_or_b32 s2, s8, s2
.LBB0_24:
	s_or_saveexec_b32 s5, s5
	v_mov_b32_e32 v14, s3
	s_xor_b32 exec_lo, exec_lo, s5
; %bb.25:
	v_add_co_u32 v2, vcc_lo, v4, -1
	v_add_co_ci_u32_e32 v3, vcc_lo, -1, v5, vcc_lo
	v_mov_b32_e32 v14, 0
	s_or_b32 s2, s2, exec_lo
; %bb.26:
	s_or_b32 exec_lo, exec_lo, s5
	s_delay_alu instid0(SALU_CYCLE_1) | instskip(SKIP_1) | instid1(SALU_CYCLE_1)
	s_and_not1_b32 s3, s7, exec_lo
	s_and_b32 s2, s2, exec_lo
	s_or_b32 s7, s3, s2
	s_or_b32 exec_lo, exec_lo, s6
	s_and_saveexec_b32 s2, s7
	s_cbranch_execnz .LBB0_3
	s_branch .LBB0_4
	.section	.rodata,"a",@progbits
	.p2align	6, 0x0
	.amdhsa_kernel _Z15gaussian_kernelPKhPhii
		.amdhsa_group_segment_fixed_size 0
		.amdhsa_private_segment_fixed_size 0
		.amdhsa_kernarg_size 280
		.amdhsa_user_sgpr_count 14
		.amdhsa_user_sgpr_dispatch_ptr 0
		.amdhsa_user_sgpr_queue_ptr 0
		.amdhsa_user_sgpr_kernarg_segment_ptr 1
		.amdhsa_user_sgpr_dispatch_id 0
		.amdhsa_user_sgpr_private_segment_size 0
		.amdhsa_wavefront_size32 1
		.amdhsa_uses_dynamic_stack 0
		.amdhsa_enable_private_segment 0
		.amdhsa_system_sgpr_workgroup_id_x 1
		.amdhsa_system_sgpr_workgroup_id_y 1
		.amdhsa_system_sgpr_workgroup_id_z 0
		.amdhsa_system_sgpr_workgroup_info 0
		.amdhsa_system_vgpr_workitem_id 1
		.amdhsa_next_free_vgpr 15
		.amdhsa_next_free_sgpr 16
		.amdhsa_reserve_vcc 1
		.amdhsa_float_round_mode_32 0
		.amdhsa_float_round_mode_16_64 0
		.amdhsa_float_denorm_mode_32 3
		.amdhsa_float_denorm_mode_16_64 3
		.amdhsa_dx10_clamp 1
		.amdhsa_ieee_mode 1
		.amdhsa_fp16_overflow 0
		.amdhsa_workgroup_processor_mode 1
		.amdhsa_memory_ordered 1
		.amdhsa_forward_progress 0
		.amdhsa_shared_vgpr_count 0
		.amdhsa_exception_fp_ieee_invalid_op 0
		.amdhsa_exception_fp_denorm_src 0
		.amdhsa_exception_fp_ieee_div_zero 0
		.amdhsa_exception_fp_ieee_overflow 0
		.amdhsa_exception_fp_ieee_underflow 0
		.amdhsa_exception_fp_ieee_inexact 0
		.amdhsa_exception_int_div_zero 0
	.end_amdhsa_kernel
	.text
.Lfunc_end0:
	.size	_Z15gaussian_kernelPKhPhii, .Lfunc_end0-_Z15gaussian_kernelPKhPhii
                                        ; -- End function
	.section	.AMDGPU.csdata,"",@progbits
; Kernel info:
; codeLenInByte = 1208
; NumSgprs: 18
; NumVgprs: 15
; ScratchSize: 0
; MemoryBound: 0
; FloatMode: 240
; IeeeMode: 1
; LDSByteSize: 0 bytes/workgroup (compile time only)
; SGPRBlocks: 2
; VGPRBlocks: 1
; NumSGPRsForWavesPerEU: 18
; NumVGPRsForWavesPerEU: 15
; Occupancy: 16
; WaveLimiterHint : 0
; COMPUTE_PGM_RSRC2:SCRATCH_EN: 0
; COMPUTE_PGM_RSRC2:USER_SGPR: 14
; COMPUTE_PGM_RSRC2:TRAP_HANDLER: 0
; COMPUTE_PGM_RSRC2:TGID_X_EN: 1
; COMPUTE_PGM_RSRC2:TGID_Y_EN: 1
; COMPUTE_PGM_RSRC2:TGID_Z_EN: 0
; COMPUTE_PGM_RSRC2:TIDIG_COMP_CNT: 1
	.text
	.protected	_Z12sobel_kernelPKhPhS1_ii ; -- Begin function _Z12sobel_kernelPKhPhS1_ii
	.globl	_Z12sobel_kernelPKhPhS1_ii
	.p2align	8
	.type	_Z12sobel_kernelPKhPhS1_ii,@function
_Z12sobel_kernelPKhPhS1_ii:             ; @_Z12sobel_kernelPKhPhS1_ii
; %bb.0:
	s_clause 0x1
	s_load_b32 s4, s[0:1], 0x2c
	s_load_b32 s5, s[0:1], 0x1c
	v_bfe_u32 v9, v0, 10, 10
	v_and_b32_e32 v12, 0x3ff, v0
	s_mov_b32 s7, 0
	s_mov_b32 s6, exec_lo
                                        ; implicit-def: $vgpr14
	s_delay_alu instid0(VALU_DEP_2) | instskip(NEXT) | instid1(VALU_DEP_2)
	v_add_nc_u32_e32 v6, 1, v9
	v_add_nc_u32_e32 v11, 1, v12
	s_waitcnt lgkmcnt(0)
	s_lshr_b32 s2, s4, 16
	s_and_b32 s4, s4, 0xffff
	v_mad_u64_u32 v[1:2], null, s15, s2, v[6:7]
	s_load_b64 s[2:3], s[0:1], 0x0
	s_mul_i32 s14, s14, s4
	s_add_i32 s22, s4, 2
	s_delay_alu instid0(SALU_CYCLE_1) | instskip(NEXT) | instid1(VALU_DEP_2)
	v_mul_u32_u24_e32 v8, s22, v6
	v_mul_lo_u32 v0, v1, s5
	s_delay_alu instid0(VALU_DEP_2) | instskip(NEXT) | instid1(VALU_DEP_1)
	v_lshl_add_u32 v10, v8, 2, 0
	v_lshl_add_u32 v5, v12, 2, v10
	s_delay_alu instid0(VALU_DEP_3) | instskip(NEXT) | instid1(VALU_DEP_1)
	v_add3_u32 v0, s14, v11, v0
	v_ashrrev_i32_e32 v1, 31, v0
	s_waitcnt lgkmcnt(0)
	v_add_co_u32 v2, vcc_lo, s2, v0
	s_delay_alu instid0(VALU_DEP_2)
	v_add_co_ci_u32_e32 v3, vcc_lo, s3, v1, vcc_lo
	global_load_u8 v4, v[2:3], off
	s_waitcnt vmcnt(0)
	ds_store_b32 v5, v4 offset:4
                                        ; implicit-def: $vgpr4_vgpr5
	v_cmpx_ne_u32_e32 0, v9
	s_xor_b32 s6, exec_lo, s6
	s_cbranch_execnz .LBB1_46
; %bb.1:
	s_or_saveexec_b32 s6, s6
	v_lshl_add_u32 v13, v12, 2, 0
	s_xor_b32 exec_lo, exec_lo, s6
	s_cbranch_execnz .LBB1_55
.LBB1_2:
	s_or_b32 exec_lo, exec_lo, s6
	s_and_saveexec_b32 s2, s7
	s_cbranch_execz .LBB1_4
.LBB1_3:
	global_load_u8 v4, v[4:5], off
	s_waitcnt vmcnt(0)
	ds_store_b32 v14, v4
.LBB1_4:
	s_or_b32 exec_lo, exec_lo, s2
	s_load_b64 s[20:21], s[0:1], 0x8
	v_mov_b32_e32 v4, -1
	v_mov_b32_e32 v5, -1
	s_mov_b32 s3, 0
	s_mov_b32 s5, -1
	s_mov_b32 s2, exec_lo
	v_cmpx_ne_u32_e32 0, v12
	s_cbranch_execz .LBB1_8
; %bb.5:
	v_mov_b32_e32 v4, -1
	v_mov_b32_e32 v5, -1
	s_mov_b32 s5, exec_lo
	v_cmpx_eq_u32_e64 s4, v11
; %bb.6:
	s_lshl_b32 s4, s4, 2
	v_mov_b32_e32 v4, 1
	v_mov_b32_e32 v5, 0
	v_add3_u32 v10, v10, s4, 4
	s_mov_b32 s3, exec_lo
; %bb.7:
	s_or_b32 exec_lo, exec_lo, s5
	s_delay_alu instid0(SALU_CYCLE_1)
	s_or_not1_b32 s5, s3, exec_lo
.LBB1_8:
	s_or_b32 exec_lo, exec_lo, s2
	s_and_saveexec_b32 s2, s5
	s_cbranch_execz .LBB1_10
; %bb.9:
	v_add_co_u32 v2, vcc_lo, v2, v4
	v_add_co_ci_u32_e32 v3, vcc_lo, v3, v5, vcc_lo
	global_load_u8 v2, v[2:3], off
	s_waitcnt vmcnt(0)
	ds_store_b32 v10, v2
.LBB1_10:
	s_or_b32 exec_lo, exec_lo, s2
	v_mul_u32_u24_e32 v2, s22, v9
	v_lshl_add_u32 v4, v8, 2, v13
	s_getpc_b64 s[2:3]
	s_add_u32 s2, s2, c_sobx@rel32@lo+4
	s_addc_u32 s3, s3, c_sobx@rel32@hi+12
	s_getpc_b64 s[12:13]
	s_add_u32 s12, s12, c_soby@rel32@lo+4
	s_addc_u32 s13, s13, c_soby@rel32@hi+12
	s_load_b256 s[4:11], s[2:3], 0x0
	v_lshl_add_u32 v6, v2, 2, v13
	s_load_b256 s[12:19], s[12:13], 0x0
	s_waitcnt lgkmcnt(0)
	s_barrier
	buffer_gl0_inv
	ds_load_2addr_b32 v[2:3], v4 offset1:1
	ds_load_b32 v8, v4 offset:8
	ds_load_2addr_b32 v[4:5], v6 offset1:1
	ds_load_b32 v9, v6 offset:8
	v_lshl_add_u32 v10, s22, 3, v6
	s_getpc_b64 s[2:3]
	s_add_u32 s2, s2, c_sobx@rel32@lo+36
	s_addc_u32 s3, s3, c_sobx@rel32@hi+44
	s_getpc_b64 s[24:25]
	s_add_u32 s24, s24, c_soby@rel32@lo+36
	s_addc_u32 s25, s25, c_soby@rel32@hi+44
	s_load_b32 s2, s[2:3], 0x0
	s_load_b32 s3, s[24:25], 0x0
	ds_load_2addr_b32 v[6:7], v10 offset1:1
	ds_load_b32 v10, v10 offset:8
	s_load_b64 s[0:1], s[0:1], 0x10
	s_waitcnt lgkmcnt(0)
	v_mul_lo_u32 v13, v8, s9
	v_mul_lo_u32 v14, v4, s4
	;; [unrolled: 1-line block ×9, first 2 shown]
	v_cvt_f32_i32_e32 v14, v14
	v_cvt_f32_i32_e32 v4, v4
	;; [unrolled: 1-line block ×4, first 2 shown]
	v_mul_lo_u32 v2, s15, v2
	v_cvt_f32_i32_e32 v16, v16
	v_cvt_f32_i32_e32 v11, v11
	;; [unrolled: 1-line block ×3, first 2 shown]
	v_add_f32_e32 v4, v4, v5
	v_cvt_f32_i32_e32 v5, v12
	v_add_f32_e32 v14, v14, v15
	v_cvt_f32_i32_e32 v12, v13
	v_mul_lo_u32 v3, s16, v3
	v_cvt_f32_i32_e32 v2, v2
	v_mul_lo_u32 v8, s17, v8
	v_dual_add_f32 v13, v14, v16 :: v_dual_add_f32 v4, v4, v9
	v_mul_lo_u32 v9, v6, s10
	v_mul_lo_u32 v6, s18, v6
	s_delay_alu instid0(VALU_DEP_3)
	v_add_f32_e32 v11, v13, v11
	v_cvt_f32_i32_e32 v3, v3
	v_cvt_f32_i32_e32 v8, v8
	v_mul_lo_u32 v13, v10, s2
	s_mov_b32 s2, 0x3b2d2a58
	v_dual_add_f32 v5, v11, v5 :: v_dual_add_f32 v2, v4, v2
	v_cvt_f32_i32_e32 v9, v9
	v_mul_lo_u32 v4, v7, s11
	v_mul_lo_u32 v7, s19, v7
	s_delay_alu instid0(VALU_DEP_4) | instskip(SKIP_2) | instid1(VALU_DEP_3)
	v_dual_add_f32 v5, v5, v12 :: v_dual_add_f32 v2, v2, v3
	v_cvt_f32_i32_e32 v6, v6
	v_mul_lo_u32 v3, s3, v10
	v_dual_add_f32 v5, v5, v9 :: v_dual_add_f32 v2, v2, v8
	v_cvt_f32_i32_e32 v4, v4
	v_cvt_f32_i32_e32 v7, v7
	s_delay_alu instid0(VALU_DEP_3) | instskip(SKIP_2) | instid1(VALU_DEP_3)
	v_add_f32_e32 v2, v2, v6
	v_cvt_f32_i32_e32 v6, v13
	v_cvt_f32_i32_e32 v3, v3
	v_add_f32_e32 v2, v2, v7
	s_delay_alu instid0(VALU_DEP_1) | instskip(NEXT) | instid1(VALU_DEP_1)
	v_dual_add_f32 v4, v5, v4 :: v_dual_add_f32 v5, v2, v3
	v_add_f32_e32 v4, v4, v6
	s_delay_alu instid0(VALU_DEP_2) | instskip(NEXT) | instid1(VALU_DEP_2)
	v_cmp_class_f32_e64 s3, v5, 0x204
	v_max_f32_e64 v6, |v4|, |v5|
	v_min_f32_e64 v8, |v4|, |v5|
	s_delay_alu instid0(VALU_DEP_2) | instskip(SKIP_2) | instid1(VALU_DEP_4)
	v_cvt_f64_f32_e32 v[2:3], v6
	v_frexp_mant_f32_e32 v7, v6
	v_frexp_exp_i32_f32_e32 v9, v6
	v_frexp_exp_i32_f32_e32 v10, v8
	v_frexp_mant_f32_e32 v8, v8
	s_delay_alu instid0(VALU_DEP_4) | instskip(NEXT) | instid1(VALU_DEP_2)
	v_rcp_f32_e32 v7, v7
	v_sub_nc_u32_e32 v9, v10, v9
	s_waitcnt_depctr 0xfff
	v_mul_f32_e32 v7, v8, v7
	s_delay_alu instid0(VALU_DEP_1) | instskip(NEXT) | instid1(VALU_DEP_1)
	v_ldexp_f32 v7, v7, v9
	v_mul_f32_e32 v8, v7, v7
	v_frexp_exp_i32_f64_e32 v2, v[2:3]
	s_delay_alu instid0(VALU_DEP_2) | instskip(NEXT) | instid1(VALU_DEP_1)
	v_fmaak_f32 v3, s2, v8, 0xbc7a590c
	v_fmaak_f32 v3, v8, v3, 0x3d29fb3f
	s_delay_alu instid0(VALU_DEP_1) | instskip(NEXT) | instid1(VALU_DEP_1)
	v_fmaak_f32 v3, v8, v3, 0xbd97d4d7
	v_fmaak_f32 v3, v8, v3, 0x3dd931b2
	s_delay_alu instid0(VALU_DEP_1) | instskip(NEXT) | instid1(VALU_DEP_1)
	;; [unrolled: 3-line block ×3, first 2 shown]
	v_fmaak_f32 v3, v8, v3, 0xbeaaaa62
	v_mul_f32_e32 v3, v8, v3
	v_sub_nc_u32_e32 v8, 0, v2
	s_delay_alu instid0(VALU_DEP_2) | instskip(SKIP_1) | instid1(VALU_DEP_3)
	v_fmac_f32_e32 v7, v7, v3
	v_cmp_gt_f32_e64 vcc_lo, |v5|, |v4|
	v_ldexp_f32 v3, |v5|, v8
	v_ldexp_f32 v8, |v4|, v8
	v_cmp_gt_i32_e64 s2, 0, v4
	v_sub_f32_e32 v9, 0x3fc90fdb, v7
	s_delay_alu instid0(VALU_DEP_2) | instskip(NEXT) | instid1(VALU_DEP_2)
	v_cndmask_b32_e64 v10, 0, 0x40490fdb, s2
	v_cndmask_b32_e32 v7, v7, v9, vcc_lo
	v_cmp_gt_f32_e32 vcc_lo, 0, v4
	v_mul_f32_e32 v3, v3, v3
	v_cmp_class_f32_e64 s2, v4, 0x204
	s_delay_alu instid0(VALU_DEP_4) | instskip(NEXT) | instid1(VALU_DEP_3)
	v_sub_f32_e32 v9, 0x40490fdb, v7
	v_dual_fmac_f32 v3, v8, v8 :: v_dual_mov_b32 v8, 0x4016cbe4
	s_delay_alu instid0(VALU_DEP_2) | instskip(NEXT) | instid1(VALU_DEP_2)
	v_cndmask_b32_e32 v7, v7, v9, vcc_lo
	v_sqrt_f32_e32 v3, v3
	s_delay_alu instid0(VALU_DEP_2) | instskip(SKIP_1) | instid1(VALU_DEP_3)
	v_cndmask_b32_e32 v8, 0x3f490fdb, v8, vcc_lo
	v_cmp_eq_f32_e32 vcc_lo, 0, v5
	v_cndmask_b32_e32 v7, v7, v10, vcc_lo
	s_and_b32 vcc_lo, s2, s3
	s_mov_b32 s2, exec_lo
	s_waitcnt_depctr 0xfff
	v_ldexp_f32 v2, v3, v2
	v_cndmask_b32_e32 v3, v7, v8, vcc_lo
	v_cmp_neq_f32_e32 vcc_lo, 0x7f800000, v6
	s_delay_alu instid0(VALU_DEP_3) | instskip(SKIP_1) | instid1(VALU_DEP_2)
	v_cndmask_b32_e32 v2, 0x7f800000, v2, vcc_lo
	v_cmp_o_f32_e32 vcc_lo, v4, v5
	v_cvt_i32_f32_e32 v4, v2
	v_cndmask_b32_e32 v3, 0x7fc00000, v3, vcc_lo
	s_delay_alu instid0(VALU_DEP_1) | instskip(SKIP_1) | instid1(VALU_DEP_4)
	v_bfi_b32 v2, 0x7fffffff, v3, v5
	v_add_co_u32 v3, vcc_lo, s20, v0
	v_med3_i32 v5, v4, 0, 0xff
	v_add_co_ci_u32_e32 v4, vcc_lo, s21, v1, vcc_lo
	global_store_b8 v[3:4], v5, off
	v_cmpx_gt_f32_e32 0, v2
	s_cbranch_execz .LBB1_20
; %bb.11:
	v_add_f32_e32 v2, 0x40c90fdb, v2
                                        ; implicit-def: $vgpr3
	s_delay_alu instid0(VALU_DEP_1) | instskip(NEXT) | instid1(VALU_DEP_1)
	v_cmp_nlt_f32_e64 s3, 0x40c90fdb, |v2|
	s_and_saveexec_b32 s4, s3
	s_delay_alu instid0(SALU_CYCLE_1)
	s_xor_b32 s3, exec_lo, s4
; %bb.12:
	v_bfi_b32 v3, 0x7fffffff, 0, v2
	v_cmp_eq_f32_e64 vcc_lo, 0x40c90fdb, |v2|
	s_delay_alu instid0(VALU_DEP_2)
	v_cndmask_b32_e32 v3, v2, v3, vcc_lo
; %bb.13:
	s_and_not1_saveexec_b32 s3, s3
	s_cbranch_execz .LBB1_19
; %bb.14:
	v_and_b32_e32 v3, 0x7fffffff, v2
	s_mov_b32 s4, exec_lo
	s_delay_alu instid0(VALU_DEP_1) | instskip(NEXT) | instid1(VALU_DEP_1)
	v_cvt_f64_f32_e32 v[3:4], v3
	v_frexp_exp_i32_f64_e32 v5, v[3:4]
	v_frexp_mant_f32_e64 v3, |v2|
	s_delay_alu instid0(VALU_DEP_1) | instskip(NEXT) | instid1(VALU_DEP_3)
	v_ldexp_f32 v3, v3, 12
	v_add_nc_u32_e32 v4, -3, v5
	s_delay_alu instid0(VALU_DEP_1)
	v_cmpx_lt_i32_e32 12, v4
	s_cbranch_execz .LBB1_18
; %bb.15:
	v_add_nc_u32_e32 v4, 9, v5
	s_mov_b32 s5, 0
	.p2align	6
.LBB1_16:                               ; =>This Inner Loop Header: Depth=1
	s_delay_alu instid0(VALU_DEP_1) | instskip(NEXT) | instid1(VALU_DEP_1)
	v_mul_f32_e32 v5, 0x3f22f983, v3
	v_rndne_f32_e32 v5, v5
	s_delay_alu instid0(VALU_DEP_1) | instskip(NEXT) | instid1(VALU_DEP_1)
	v_fmac_f32_e32 v3, 0xbfc90fdb, v5
	v_dual_mov_b32 v5, v4 :: v_dual_add_f32 v6, 0x3fc90fdb, v3
	v_cmp_gt_f32_e32 vcc_lo, 0, v3
	s_delay_alu instid0(VALU_DEP_2) | instskip(NEXT) | instid1(VALU_DEP_1)
	v_dual_cndmask_b32 v3, v3, v6 :: v_dual_add_nc_u32 v4, -12, v5
	v_cmp_gt_u32_e32 vcc_lo, 25, v4
	s_delay_alu instid0(VALU_DEP_2) | instskip(SKIP_1) | instid1(SALU_CYCLE_1)
	v_ldexp_f32 v3, v3, 12
	s_or_b32 s5, vcc_lo, s5
	s_and_not1_b32 exec_lo, exec_lo, s5
	s_cbranch_execnz .LBB1_16
; %bb.17:
	s_or_b32 exec_lo, exec_lo, s5
	v_subrev_nc_u32_e32 v4, 24, v5
.LBB1_18:
	s_or_b32 exec_lo, exec_lo, s4
	s_delay_alu instid0(VALU_DEP_1) | instskip(NEXT) | instid1(VALU_DEP_1)
	v_add_nc_u32_e32 v4, -11, v4
	v_ldexp_f32 v3, v3, v4
	s_delay_alu instid0(VALU_DEP_1) | instskip(NEXT) | instid1(VALU_DEP_1)
	v_mul_f32_e32 v4, 0x3f22f983, v3
	v_rndne_f32_e32 v4, v4
	s_delay_alu instid0(VALU_DEP_1) | instskip(NEXT) | instid1(VALU_DEP_1)
	v_fmamk_f32 v3, v4, 0xbfc90fdb, v3
	v_add_f32_e32 v4, 0x3fc90fdb, v3
	v_cmp_gt_f32_e32 vcc_lo, 0, v3
	s_delay_alu instid0(VALU_DEP_2) | instskip(NEXT) | instid1(VALU_DEP_1)
	v_dual_cndmask_b32 v3, v3, v4 :: v_dual_and_b32 v4, 0x80000000, v2
	v_ldexp_f32 v3, v3, 2
	s_delay_alu instid0(VALU_DEP_1)
	v_xor_b32_e32 v3, v4, v3
.LBB1_19:
	s_or_b32 exec_lo, exec_lo, s3
	v_cmp_class_f32_e64 vcc_lo, v2, 0x1f8
	s_delay_alu instid0(VALU_DEP_2)
	v_cndmask_b32_e32 v2, 0x7fc00000, v3, vcc_lo
.LBB1_20:
	s_or_b32 exec_lo, exec_lo, s2
	s_delay_alu instid0(SALU_CYCLE_1) | instskip(NEXT) | instid1(VALU_DEP_1)
	s_mov_b32 s2, exec_lo
	v_cmpx_ge_f32_e32 0x3ec90fdb, v2
	s_xor_b32 s2, exec_lo, s2
	s_cbranch_execz .LBB1_22
; %bb.21:
	v_add_co_u32 v0, vcc_lo, s0, v0
	v_add_co_ci_u32_e32 v1, vcc_lo, s1, v1, vcc_lo
	v_mov_b32_e32 v2, 0
	global_store_b8 v[0:1], v2, off
                                        ; implicit-def: $vgpr2
                                        ; implicit-def: $vgpr0_vgpr1
.LBB1_22:
	s_and_not1_saveexec_b32 s2, s2
	s_cbranch_execz .LBB1_45
; %bb.23:
	s_mov_b32 s2, exec_lo
	v_cmpx_ge_f32_e32 0x3f96cbe4, v2
	s_xor_b32 s2, exec_lo, s2
	s_cbranch_execz .LBB1_25
; %bb.24:
	v_add_co_u32 v0, vcc_lo, s0, v0
	v_add_co_ci_u32_e32 v1, vcc_lo, s1, v1, vcc_lo
	v_mov_b32_e32 v2, 45
	global_store_b8 v[0:1], v2, off
                                        ; implicit-def: $vgpr2
                                        ; implicit-def: $vgpr0_vgpr1
.LBB1_25:
	s_and_not1_saveexec_b32 s2, s2
	s_cbranch_execz .LBB1_45
; %bb.26:
	;; [unrolled: 15-line block ×7, first 2 shown]
	v_add_co_u32 v0, s0, s0, v0
	s_delay_alu instid0(VALU_DEP_1)
	v_add_co_ci_u32_e64 v1, s0, s1, v1, s0
	s_mov_b32 s0, exec_lo
	v_cmpx_ge_f32_e32 0x40bc7edd, v2
	s_xor_b32 s0, exec_lo, s0
	s_cbranch_execz .LBB1_43
; %bb.42:
	v_mov_b32_e32 v2, 0x87
	global_store_b8 v[0:1], v2, off
                                        ; implicit-def: $vgpr0_vgpr1
.LBB1_43:
	s_and_not1_saveexec_b32 s0, s0
	s_cbranch_execz .LBB1_45
; %bb.44:
	v_mov_b32_e32 v2, 0
	global_store_b8 v[0:1], v2, off
.LBB1_45:
	s_nop 0
	s_sendmsg sendmsg(MSG_DEALLOC_VGPRS)
	s_endpgm
.LBB1_46:
	s_mov_b32 s8, 0
	s_mov_b32 s7, exec_lo
                                        ; implicit-def: $vgpr14
                                        ; implicit-def: $vgpr4_vgpr5
	v_cmpx_eq_u32_e64 s4, v6
	s_cbranch_execz .LBB1_54
; %bb.47:
	s_ashr_i32 s8, s5, 31
	v_add_co_u32 v6, vcc_lo, v2, s5
	v_add_co_ci_u32_e32 v7, vcc_lo, s8, v3, vcc_lo
	s_add_i32 s8, s4, 1
	s_mov_b32 s9, 0
	s_mul_i32 s8, s8, s22
	global_load_u8 v4, v[6:7], off
	s_lshl_b32 s8, s8, 2
	s_mov_b32 s10, exec_lo
	s_add_i32 s8, s8, 0
                                        ; implicit-def: $sgpr11
	s_delay_alu instid0(SALU_CYCLE_1)
	v_lshl_add_u32 v5, v12, 2, s8
	s_waitcnt vmcnt(0)
	ds_store_b32 v5, v4 offset:4
                                        ; implicit-def: $vgpr4_vgpr5
	v_cmpx_ne_u32_e32 0, v12
	s_xor_b32 s10, exec_lo, s10
	s_cbranch_execz .LBB1_51
; %bb.48:
	s_mov_b32 s12, exec_lo
                                        ; implicit-def: $sgpr11
                                        ; implicit-def: $vgpr4_vgpr5
	v_cmpx_eq_u32_e64 s4, v11
	s_xor_b32 s12, exec_lo, s12
; %bb.49:
	v_add_co_u32 v4, vcc_lo, v6, 1
	s_lshl_b32 s11, s4, 2
	v_add_co_ci_u32_e32 v5, vcc_lo, 0, v7, vcc_lo
	s_add_i32 s11, s8, s11
	s_mov_b32 s9, exec_lo
	s_add_i32 s11, s11, 4
; %bb.50:
	s_or_b32 exec_lo, exec_lo, s12
	s_delay_alu instid0(SALU_CYCLE_1)
	s_and_b32 s9, s9, exec_lo
                                        ; implicit-def: $vgpr6
.LBB1_51:
	s_or_saveexec_b32 s10, s10
	v_mov_b32_e32 v14, s11
	s_xor_b32 exec_lo, exec_lo, s10
; %bb.52:
	v_add_co_u32 v4, vcc_lo, v6, -1
	v_add_co_ci_u32_e32 v5, vcc_lo, -1, v7, vcc_lo
	v_mov_b32_e32 v14, s8
	s_or_b32 s9, s9, exec_lo
; %bb.53:
	s_or_b32 exec_lo, exec_lo, s10
	s_delay_alu instid0(SALU_CYCLE_1)
	s_and_b32 s8, s9, exec_lo
.LBB1_54:
	s_or_b32 exec_lo, exec_lo, s7
	s_delay_alu instid0(SALU_CYCLE_1)
	s_and_b32 s7, s8, exec_lo
	s_or_saveexec_b32 s6, s6
	v_lshl_add_u32 v13, v12, 2, 0
	s_xor_b32 exec_lo, exec_lo, s6
	s_cbranch_execz .LBB1_2
.LBB1_55:
	v_subrev_nc_u32_e32 v4, s5, v0
	s_mov_b32 s5, exec_lo
	s_delay_alu instid0(VALU_DEP_1) | instskip(SKIP_2) | instid1(VALU_DEP_2)
	v_ashrrev_i32_e32 v5, 31, v4
	v_add_co_u32 v6, vcc_lo, s2, v4
	s_mov_b32 s2, s7
	v_add_co_ci_u32_e32 v7, vcc_lo, s3, v5, vcc_lo
                                        ; implicit-def: $sgpr3
	global_load_u8 v4, v[6:7], off
	s_waitcnt vmcnt(0)
	ds_store_b32 v13, v4 offset:4
                                        ; implicit-def: $vgpr4_vgpr5
	v_cmpx_ne_u32_e32 0, v12
	s_xor_b32 s5, exec_lo, s5
	s_cbranch_execz .LBB1_59
; %bb.56:
	s_mov_b32 s2, s7
	s_mov_b32 s8, exec_lo
                                        ; implicit-def: $sgpr3
                                        ; implicit-def: $vgpr4_vgpr5
	v_cmpx_eq_u32_e64 s4, v11
	s_xor_b32 s8, exec_lo, s8
; %bb.57:
	s_lshl_b32 s2, s4, 2
	v_add_co_u32 v4, vcc_lo, v6, 1
	s_add_i32 s2, s2, 0
	v_add_co_ci_u32_e32 v5, vcc_lo, 0, v7, vcc_lo
	s_add_i32 s3, s2, 4
	s_or_b32 s2, s7, exec_lo
; %bb.58:
	s_or_b32 exec_lo, exec_lo, s8
	s_delay_alu instid0(SALU_CYCLE_1) | instskip(SKIP_1) | instid1(SALU_CYCLE_1)
	s_and_not1_b32 s8, s7, exec_lo
	s_and_b32 s2, s2, exec_lo
                                        ; implicit-def: $vgpr6
	s_or_b32 s2, s8, s2
.LBB1_59:
	s_or_saveexec_b32 s5, s5
	v_mov_b32_e32 v14, s3
	s_xor_b32 exec_lo, exec_lo, s5
; %bb.60:
	v_add_co_u32 v4, vcc_lo, v6, -1
	v_add_co_ci_u32_e32 v5, vcc_lo, -1, v7, vcc_lo
	v_mov_b32_e32 v14, 0
	s_or_b32 s2, s2, exec_lo
; %bb.61:
	s_or_b32 exec_lo, exec_lo, s5
	s_delay_alu instid0(SALU_CYCLE_1) | instskip(SKIP_1) | instid1(SALU_CYCLE_1)
	s_and_not1_b32 s3, s7, exec_lo
	s_and_b32 s2, s2, exec_lo
	s_or_b32 s7, s3, s2
	s_or_b32 exec_lo, exec_lo, s6
	s_and_saveexec_b32 s2, s7
	s_cbranch_execnz .LBB1_3
	s_branch .LBB1_4
	.section	.rodata,"a",@progbits
	.p2align	6, 0x0
	.amdhsa_kernel _Z12sobel_kernelPKhPhS1_ii
		.amdhsa_group_segment_fixed_size 0
		.amdhsa_private_segment_fixed_size 0
		.amdhsa_kernarg_size 288
		.amdhsa_user_sgpr_count 14
		.amdhsa_user_sgpr_dispatch_ptr 0
		.amdhsa_user_sgpr_queue_ptr 0
		.amdhsa_user_sgpr_kernarg_segment_ptr 1
		.amdhsa_user_sgpr_dispatch_id 0
		.amdhsa_user_sgpr_private_segment_size 0
		.amdhsa_wavefront_size32 1
		.amdhsa_uses_dynamic_stack 0
		.amdhsa_enable_private_segment 0
		.amdhsa_system_sgpr_workgroup_id_x 1
		.amdhsa_system_sgpr_workgroup_id_y 1
		.amdhsa_system_sgpr_workgroup_id_z 0
		.amdhsa_system_sgpr_workgroup_info 0
		.amdhsa_system_vgpr_workitem_id 1
		.amdhsa_next_free_vgpr 17
		.amdhsa_next_free_sgpr 26
		.amdhsa_reserve_vcc 1
		.amdhsa_float_round_mode_32 0
		.amdhsa_float_round_mode_16_64 0
		.amdhsa_float_denorm_mode_32 3
		.amdhsa_float_denorm_mode_16_64 3
		.amdhsa_dx10_clamp 1
		.amdhsa_ieee_mode 1
		.amdhsa_fp16_overflow 0
		.amdhsa_workgroup_processor_mode 1
		.amdhsa_memory_ordered 1
		.amdhsa_forward_progress 0
		.amdhsa_shared_vgpr_count 0
		.amdhsa_exception_fp_ieee_invalid_op 0
		.amdhsa_exception_fp_denorm_src 0
		.amdhsa_exception_fp_ieee_div_zero 0
		.amdhsa_exception_fp_ieee_overflow 0
		.amdhsa_exception_fp_ieee_underflow 0
		.amdhsa_exception_fp_ieee_inexact 0
		.amdhsa_exception_int_div_zero 0
	.end_amdhsa_kernel
	.text
.Lfunc_end1:
	.size	_Z12sobel_kernelPKhPhS1_ii, .Lfunc_end1-_Z12sobel_kernelPKhPhS1_ii
                                        ; -- End function
	.section	.AMDGPU.csdata,"",@progbits
; Kernel info:
; codeLenInByte = 2616
; NumSgprs: 28
; NumVgprs: 17
; ScratchSize: 0
; MemoryBound: 0
; FloatMode: 240
; IeeeMode: 1
; LDSByteSize: 0 bytes/workgroup (compile time only)
; SGPRBlocks: 3
; VGPRBlocks: 2
; NumSGPRsForWavesPerEU: 28
; NumVGPRsForWavesPerEU: 17
; Occupancy: 16
; WaveLimiterHint : 0
; COMPUTE_PGM_RSRC2:SCRATCH_EN: 0
; COMPUTE_PGM_RSRC2:USER_SGPR: 14
; COMPUTE_PGM_RSRC2:TRAP_HANDLER: 0
; COMPUTE_PGM_RSRC2:TGID_X_EN: 1
; COMPUTE_PGM_RSRC2:TGID_Y_EN: 1
; COMPUTE_PGM_RSRC2:TGID_Z_EN: 0
; COMPUTE_PGM_RSRC2:TIDIG_COMP_CNT: 1
	.text
	.protected	_Z19non_max_supp_kernelPKhPhS0_ii ; -- Begin function _Z19non_max_supp_kernelPKhPhS0_ii
	.globl	_Z19non_max_supp_kernelPKhPhS0_ii
	.p2align	8
	.type	_Z19non_max_supp_kernelPKhPhS0_ii,@function
_Z19non_max_supp_kernelPKhPhS0_ii:      ; @_Z19non_max_supp_kernelPKhPhS0_ii
; %bb.0:
	s_clause 0x1
	s_load_b32 s4, s[0:1], 0x2c
	s_load_b32 s6, s[0:1], 0x1c
	v_bfe_u32 v10, v0, 10, 10
	v_and_b32_e32 v9, 0x3ff, v0
	s_mov_b32 s8, 0
	s_mov_b32 s7, exec_lo
                                        ; implicit-def: $vgpr13
	s_delay_alu instid0(VALU_DEP_2) | instskip(NEXT) | instid1(VALU_DEP_2)
	v_add_nc_u32_e32 v4, 1, v10
	v_add_nc_u32_e32 v12, 1, v9
	s_waitcnt lgkmcnt(0)
	s_lshr_b32 s2, s4, 16
	s_and_b32 s5, s4, 0xffff
	v_mad_u64_u32 v[1:2], null, s15, s2, v[4:5]
	s_load_b64 s[2:3], s[0:1], 0x0
	s_mul_i32 s14, s14, s5
	s_add_i32 s4, s5, 2
	s_delay_alu instid0(SALU_CYCLE_1) | instskip(NEXT) | instid1(VALU_DEP_2)
	v_mul_u32_u24_e32 v3, s4, v4
	v_mul_lo_u32 v0, v1, s6
	s_delay_alu instid0(VALU_DEP_2) | instskip(NEXT) | instid1(VALU_DEP_1)
	v_lshl_add_u32 v11, v3, 2, 0
	v_lshl_add_u32 v8, v9, 2, v11
	s_delay_alu instid0(VALU_DEP_3) | instskip(NEXT) | instid1(VALU_DEP_1)
	v_add3_u32 v6, s14, v12, v0
	v_ashrrev_i32_e32 v7, 31, v6
	s_waitcnt lgkmcnt(0)
	v_add_co_u32 v0, vcc_lo, s2, v6
	s_delay_alu instid0(VALU_DEP_2)
	v_add_co_ci_u32_e32 v1, vcc_lo, s3, v7, vcc_lo
	global_load_u8 v2, v[0:1], off
	s_waitcnt vmcnt(0)
	ds_store_b32 v8, v2 offset:4
                                        ; implicit-def: $vgpr2_vgpr3
	v_cmpx_ne_u32_e32 0, v10
	s_xor_b32 s7, exec_lo, s7
	s_cbranch_execnz .LBB2_15
; %bb.1:
	s_and_not1_saveexec_b32 s7, s7
	s_cbranch_execnz .LBB2_24
.LBB2_2:
	s_or_b32 exec_lo, exec_lo, s7
	s_and_saveexec_b32 s2, s8
	s_cbranch_execz .LBB2_4
.LBB2_3:
	global_load_u8 v2, v[2:3], off
	s_waitcnt vmcnt(0)
	ds_store_b32 v13, v2
.LBB2_4:
	s_or_b32 exec_lo, exec_lo, s2
	v_mov_b32_e32 v2, -1
	v_mov_b32_e32 v3, -1
	s_mov_b32 s3, 0
	s_mov_b32 s6, -1
	s_mov_b32 s2, exec_lo
	v_cmpx_ne_u32_e32 0, v9
	s_cbranch_execz .LBB2_8
; %bb.5:
	v_mov_b32_e32 v2, -1
	v_mov_b32_e32 v3, -1
	s_mov_b32 s6, exec_lo
	v_cmpx_eq_u32_e64 s5, v12
; %bb.6:
	s_lshl_b32 s5, s5, 2
	v_mov_b32_e32 v2, 1
	v_mov_b32_e32 v3, 0
	v_add3_u32 v11, v11, s5, 4
	s_mov_b32 s3, exec_lo
; %bb.7:
	s_or_b32 exec_lo, exec_lo, s6
	s_delay_alu instid0(SALU_CYCLE_1)
	s_or_not1_b32 s6, s3, exec_lo
.LBB2_8:
	s_or_b32 exec_lo, exec_lo, s2
	s_load_b128 s[0:3], s[0:1], 0x8
	s_and_saveexec_b32 s5, s6
	s_cbranch_execz .LBB2_10
; %bb.9:
	v_add_co_u32 v0, vcc_lo, v0, v2
	v_add_co_ci_u32_e32 v1, vcc_lo, v1, v3, vcc_lo
	global_load_u8 v0, v[0:1], off
	s_waitcnt vmcnt(0)
	ds_store_b32 v11, v0
.LBB2_10:
	s_or_b32 exec_lo, exec_lo, s5
	s_waitcnt lgkmcnt(0)
	v_add_co_u32 v0, vcc_lo, s2, v6
	v_add_co_ci_u32_e32 v1, vcc_lo, s3, v7, vcc_lo
	s_barrier
	buffer_gl0_inv
	global_load_u8 v2, v[0:1], off
	ds_load_b32 v0, v8 offset:4
	s_mov_b32 s2, 0
	s_mov_b32 s3, exec_lo
                                        ; implicit-def: $vgpr1
	s_waitcnt lgkmcnt(0)
	v_and_b32_e32 v0, 0xff, v0
	s_waitcnt vmcnt(0)
	v_cmpx_lt_i16_e32 0x59, v2
	s_xor_b32 s3, exec_lo, s3
	s_cbranch_execnz .LBB2_31
; %bb.11:
	s_and_not1_saveexec_b32 s3, s3
	s_cbranch_execnz .LBB2_44
.LBB2_12:
	s_or_b32 exec_lo, exec_lo, s3
	s_and_saveexec_b32 s3, s2
	s_cbranch_execz .LBB2_14
.LBB2_13:
	ds_load_b32 v1, v8
	s_waitcnt lgkmcnt(0)
	v_cmp_gt_i32_e32 vcc_lo, v0, v1
	v_cndmask_b32_e32 v1, 0, v0, vcc_lo
.LBB2_14:
	s_or_b32 exec_lo, exec_lo, s3
	v_add_co_u32 v2, vcc_lo, s0, v6
	v_add_co_ci_u32_e32 v3, vcc_lo, s1, v7, vcc_lo
	global_store_b8 v[2:3], v1, off
	s_nop 0
	s_sendmsg sendmsg(MSG_DEALLOC_VGPRS)
	s_endpgm
.LBB2_15:
	s_mov_b32 s9, 0
	s_mov_b32 s8, exec_lo
                                        ; implicit-def: $vgpr13
                                        ; implicit-def: $vgpr2_vgpr3
	v_cmpx_eq_u32_e64 s5, v4
	s_cbranch_execz .LBB2_23
; %bb.16:
	s_ashr_i32 s9, s6, 31
	v_add_co_u32 v4, vcc_lo, v0, s6
	v_add_co_ci_u32_e32 v5, vcc_lo, s9, v1, vcc_lo
	s_add_i32 s9, s5, 1
	s_mov_b32 s10, 0
	s_mul_i32 s9, s9, s4
	global_load_u8 v2, v[4:5], off
	s_lshl_b32 s9, s9, 2
	s_mov_b32 s11, exec_lo
	s_add_i32 s9, s9, 0
                                        ; implicit-def: $sgpr12
	s_delay_alu instid0(SALU_CYCLE_1)
	v_lshl_add_u32 v3, v9, 2, s9
	s_waitcnt vmcnt(0)
	ds_store_b32 v3, v2 offset:4
                                        ; implicit-def: $vgpr2_vgpr3
	v_cmpx_ne_u32_e32 0, v9
	s_xor_b32 s11, exec_lo, s11
	s_cbranch_execz .LBB2_20
; %bb.17:
	s_mov_b32 s13, exec_lo
                                        ; implicit-def: $sgpr12
                                        ; implicit-def: $vgpr2_vgpr3
	v_cmpx_eq_u32_e64 s5, v12
	s_xor_b32 s13, exec_lo, s13
; %bb.18:
	v_add_co_u32 v2, vcc_lo, v4, 1
	s_lshl_b32 s12, s5, 2
	v_add_co_ci_u32_e32 v3, vcc_lo, 0, v5, vcc_lo
	s_add_i32 s12, s9, s12
	s_mov_b32 s10, exec_lo
	s_add_i32 s12, s12, 4
; %bb.19:
	s_or_b32 exec_lo, exec_lo, s13
	s_delay_alu instid0(SALU_CYCLE_1)
	s_and_b32 s10, s10, exec_lo
                                        ; implicit-def: $vgpr4
.LBB2_20:
	s_or_saveexec_b32 s11, s11
	v_mov_b32_e32 v13, s12
	s_xor_b32 exec_lo, exec_lo, s11
; %bb.21:
	v_add_co_u32 v2, vcc_lo, v4, -1
	v_add_co_ci_u32_e32 v3, vcc_lo, -1, v5, vcc_lo
	v_mov_b32_e32 v13, s9
	s_or_b32 s10, s10, exec_lo
; %bb.22:
	s_or_b32 exec_lo, exec_lo, s11
	s_delay_alu instid0(SALU_CYCLE_1)
	s_and_b32 s9, s10, exec_lo
.LBB2_23:
	s_or_b32 exec_lo, exec_lo, s8
	s_delay_alu instid0(SALU_CYCLE_1)
	s_and_b32 s8, s9, exec_lo
	s_and_not1_saveexec_b32 s7, s7
	s_cbranch_execz .LBB2_2
.LBB2_24:
	v_subrev_nc_u32_e32 v2, s6, v6
	s_mov_b32 s6, exec_lo
	s_delay_alu instid0(VALU_DEP_1) | instskip(SKIP_2) | instid1(VALU_DEP_2)
	v_ashrrev_i32_e32 v3, 31, v2
	v_add_co_u32 v4, vcc_lo, s2, v2
	s_mov_b32 s2, s8
	v_add_co_ci_u32_e32 v5, vcc_lo, s3, v3, vcc_lo
	v_lshl_add_u32 v3, v9, 2, 0
                                        ; implicit-def: $sgpr3
	global_load_u8 v2, v[4:5], off
	s_waitcnt vmcnt(0)
	ds_store_b32 v3, v2 offset:4
                                        ; implicit-def: $vgpr2_vgpr3
	v_cmpx_ne_u32_e32 0, v9
	s_xor_b32 s6, exec_lo, s6
	s_cbranch_execz .LBB2_28
; %bb.25:
	s_mov_b32 s2, s8
	s_mov_b32 s9, exec_lo
                                        ; implicit-def: $sgpr3
                                        ; implicit-def: $vgpr2_vgpr3
	v_cmpx_eq_u32_e64 s5, v12
	s_xor_b32 s9, exec_lo, s9
; %bb.26:
	s_lshl_b32 s2, s5, 2
	v_add_co_u32 v2, vcc_lo, v4, 1
	s_add_i32 s2, s2, 0
	v_add_co_ci_u32_e32 v3, vcc_lo, 0, v5, vcc_lo
	s_add_i32 s3, s2, 4
	s_or_b32 s2, s8, exec_lo
; %bb.27:
	s_or_b32 exec_lo, exec_lo, s9
	s_delay_alu instid0(SALU_CYCLE_1) | instskip(SKIP_1) | instid1(SALU_CYCLE_1)
	s_and_not1_b32 s9, s8, exec_lo
	s_and_b32 s2, s2, exec_lo
                                        ; implicit-def: $vgpr4
	s_or_b32 s2, s9, s2
.LBB2_28:
	s_or_saveexec_b32 s6, s6
	v_mov_b32_e32 v13, s3
	s_xor_b32 exec_lo, exec_lo, s6
; %bb.29:
	v_add_co_u32 v2, vcc_lo, v4, -1
	v_add_co_ci_u32_e32 v3, vcc_lo, -1, v5, vcc_lo
	v_mov_b32_e32 v13, 0
	s_or_b32 s2, s2, exec_lo
; %bb.30:
	s_or_b32 exec_lo, exec_lo, s6
	s_delay_alu instid0(SALU_CYCLE_1) | instskip(SKIP_1) | instid1(SALU_CYCLE_1)
	s_and_not1_b32 s3, s8, exec_lo
	s_and_b32 s2, s2, exec_lo
	s_or_b32 s8, s3, s2
	s_or_b32 exec_lo, exec_lo, s7
	s_and_saveexec_b32 s2, s8
	s_cbranch_execnz .LBB2_3
	s_branch .LBB2_4
.LBB2_31:
	s_mov_b32 s5, exec_lo
                                        ; implicit-def: $vgpr8
                                        ; implicit-def: $vgpr1
	v_cmpx_lt_i16_e32 0x86, v2
	s_xor_b32 s5, exec_lo, s5
	s_cbranch_execz .LBB2_37
; %bb.32:
	v_mov_b32_e32 v1, v0
	s_mov_b32 s6, 0
	s_mov_b32 s2, exec_lo
                                        ; implicit-def: $vgpr8
	v_cmpx_eq_u16_e32 0x87, v2
	s_cbranch_execz .LBB2_36
; %bb.33:
	v_mul_u32_u24_e32 v1, s4, v10
	s_mov_b32 s7, exec_lo
                                        ; implicit-def: $vgpr8
	s_delay_alu instid0(VALU_DEP_1) | instskip(NEXT) | instid1(VALU_DEP_1)
	v_lshl_add_u32 v1, v1, 2, 0
	v_lshl_add_u32 v2, v9, 2, v1
	ds_load_b32 v2, v2
	s_waitcnt lgkmcnt(0)
	v_cmpx_gt_i32_e64 v0, v2
	s_xor_b32 s7, exec_lo, s7
; %bb.34:
	v_lshl_add_u32 v1, s4, 3, v1
	v_lshlrev_b32_e32 v2, 2, v9
	s_mov_b32 s6, exec_lo
	s_delay_alu instid0(VALU_DEP_1)
	v_add3_u32 v8, v1, v2, 8
; %bb.35:
	s_or_b32 exec_lo, exec_lo, s7
	v_mov_b32_e32 v1, 0
	s_and_b32 s6, s6, exec_lo
.LBB2_36:
	s_or_b32 exec_lo, exec_lo, s2
	s_delay_alu instid0(SALU_CYCLE_1)
	s_and_b32 s2, s6, exec_lo
                                        ; implicit-def: $vgpr2
                                        ; implicit-def: $vgpr10
                                        ; implicit-def: $vgpr9
.LBB2_37:
	s_and_not1_saveexec_b32 s5, s5
	s_cbranch_execz .LBB2_43
; %bb.38:
	v_mov_b32_e32 v1, v0
	s_mov_b32 s7, s2
	s_mov_b32 s6, exec_lo
                                        ; implicit-def: $vgpr8
	v_cmpx_eq_u16_e32 0x5a, v2
	s_cbranch_execz .LBB2_42
; %bb.39:
	v_mul_u32_u24_e32 v1, s4, v10
	s_mov_b32 s7, s2
	s_mov_b32 s8, exec_lo
                                        ; implicit-def: $vgpr8
	s_delay_alu instid0(VALU_DEP_1) | instskip(NEXT) | instid1(VALU_DEP_1)
	v_lshl_add_u32 v1, v1, 2, 0
	v_lshl_add_u32 v2, v9, 2, v1
	ds_load_b32 v2, v2 offset:4
	s_waitcnt lgkmcnt(0)
	v_cmpx_gt_i32_e64 v0, v2
	s_xor_b32 s8, exec_lo, s8
; %bb.40:
	v_lshl_add_u32 v1, s4, 3, v1
	v_lshlrev_b32_e32 v2, 2, v9
	s_or_b32 s7, s2, exec_lo
	s_delay_alu instid0(VALU_DEP_1)
	v_add3_u32 v8, v1, v2, 4
; %bb.41:
	s_or_b32 exec_lo, exec_lo, s8
	v_mov_b32_e32 v1, 0
	s_and_not1_b32 s8, s2, exec_lo
	s_and_b32 s7, s7, exec_lo
	s_delay_alu instid0(SALU_CYCLE_1)
	s_or_b32 s7, s8, s7
.LBB2_42:
	s_or_b32 exec_lo, exec_lo, s6
	s_delay_alu instid0(SALU_CYCLE_1) | instskip(SKIP_1) | instid1(SALU_CYCLE_1)
	s_and_not1_b32 s2, s2, exec_lo
	s_and_b32 s6, s7, exec_lo
	s_or_b32 s2, s2, s6
.LBB2_43:
	s_or_b32 exec_lo, exec_lo, s5
	s_delay_alu instid0(SALU_CYCLE_1)
	s_and_b32 s2, s2, exec_lo
                                        ; implicit-def: $vgpr2
                                        ; implicit-def: $vgpr10
                                        ; implicit-def: $vgpr9
	s_and_not1_saveexec_b32 s3, s3
	s_cbranch_execz .LBB2_12
.LBB2_44:
	s_mov_b32 s5, s2
	s_mov_b32 s6, exec_lo
                                        ; implicit-def: $vgpr1
	v_cmpx_lt_i16_e32 44, v2
	s_xor_b32 s6, exec_lo, s6
	s_cbranch_execz .LBB2_50
; %bb.45:
	v_mov_b32_e32 v1, v0
	s_mov_b32 s7, s2
	s_mov_b32 s5, exec_lo
                                        ; implicit-def: $vgpr8
	v_cmpx_eq_u16_e32 45, v2
	s_cbranch_execz .LBB2_49
; %bb.46:
	v_mul_u32_u24_e32 v1, s4, v10
	s_mov_b32 s7, s2
	s_mov_b32 s8, exec_lo
                                        ; implicit-def: $vgpr8
	s_delay_alu instid0(VALU_DEP_1) | instskip(NEXT) | instid1(VALU_DEP_1)
	v_lshl_add_u32 v1, v1, 2, 0
	v_lshl_add_u32 v2, v9, 2, v1
	ds_load_b32 v2, v2 offset:8
	s_waitcnt lgkmcnt(0)
	v_cmpx_gt_i32_e64 v0, v2
	s_xor_b32 s8, exec_lo, s8
; %bb.47:
	v_lshlrev_b32_e32 v2, 2, v9
	s_lshl_b32 s4, s4, 3
	s_or_b32 s7, s2, exec_lo
	s_delay_alu instid0(VALU_DEP_1)
	v_add3_u32 v8, v1, s4, v2
; %bb.48:
	s_or_b32 exec_lo, exec_lo, s8
	v_mov_b32_e32 v1, 0
	s_and_not1_b32 s4, s2, exec_lo
	s_and_b32 s7, s7, exec_lo
	s_delay_alu instid0(SALU_CYCLE_1)
	s_or_b32 s7, s4, s7
.LBB2_49:
	s_or_b32 exec_lo, exec_lo, s5
	s_delay_alu instid0(SALU_CYCLE_1) | instskip(SKIP_1) | instid1(SALU_CYCLE_1)
	s_and_not1_b32 s4, s2, exec_lo
	s_and_b32 s5, s7, exec_lo
                                        ; implicit-def: $vgpr2
	s_or_b32 s5, s4, s5
.LBB2_50:
	s_and_not1_saveexec_b32 s4, s6
	s_cbranch_execz .LBB2_54
; %bb.51:
	v_mov_b32_e32 v1, v0
	s_mov_b32 s7, s5
	s_mov_b32 s6, exec_lo
	v_cmpx_eq_u16_e32 0, v2
	s_cbranch_execz .LBB2_53
; %bb.52:
	ds_load_b32 v1, v8 offset:8
	s_and_not1_b32 s7, s5, exec_lo
	s_waitcnt lgkmcnt(0)
	v_cmp_gt_i32_e32 vcc_lo, v0, v1
	v_mov_b32_e32 v1, 0
	s_and_b32 s8, vcc_lo, exec_lo
	s_delay_alu instid0(SALU_CYCLE_1)
	s_or_b32 s7, s7, s8
.LBB2_53:
	s_or_b32 exec_lo, exec_lo, s6
	s_delay_alu instid0(SALU_CYCLE_1) | instskip(SKIP_1) | instid1(SALU_CYCLE_1)
	s_and_not1_b32 s5, s5, exec_lo
	s_and_b32 s6, s7, exec_lo
	s_or_b32 s5, s5, s6
.LBB2_54:
	s_or_b32 exec_lo, exec_lo, s4
	s_delay_alu instid0(SALU_CYCLE_1) | instskip(SKIP_1) | instid1(SALU_CYCLE_1)
	s_and_not1_b32 s2, s2, exec_lo
	s_and_b32 s4, s5, exec_lo
	s_or_b32 s2, s2, s4
	s_or_b32 exec_lo, exec_lo, s3
	s_and_saveexec_b32 s3, s2
	s_cbranch_execnz .LBB2_13
	s_branch .LBB2_14
	.section	.rodata,"a",@progbits
	.p2align	6, 0x0
	.amdhsa_kernel _Z19non_max_supp_kernelPKhPhS0_ii
		.amdhsa_group_segment_fixed_size 0
		.amdhsa_private_segment_fixed_size 0
		.amdhsa_kernarg_size 288
		.amdhsa_user_sgpr_count 14
		.amdhsa_user_sgpr_dispatch_ptr 0
		.amdhsa_user_sgpr_queue_ptr 0
		.amdhsa_user_sgpr_kernarg_segment_ptr 1
		.amdhsa_user_sgpr_dispatch_id 0
		.amdhsa_user_sgpr_private_segment_size 0
		.amdhsa_wavefront_size32 1
		.amdhsa_uses_dynamic_stack 0
		.amdhsa_enable_private_segment 0
		.amdhsa_system_sgpr_workgroup_id_x 1
		.amdhsa_system_sgpr_workgroup_id_y 1
		.amdhsa_system_sgpr_workgroup_id_z 0
		.amdhsa_system_sgpr_workgroup_info 0
		.amdhsa_system_vgpr_workitem_id 1
		.amdhsa_next_free_vgpr 14
		.amdhsa_next_free_sgpr 16
		.amdhsa_reserve_vcc 1
		.amdhsa_float_round_mode_32 0
		.amdhsa_float_round_mode_16_64 0
		.amdhsa_float_denorm_mode_32 3
		.amdhsa_float_denorm_mode_16_64 3
		.amdhsa_dx10_clamp 1
		.amdhsa_ieee_mode 1
		.amdhsa_fp16_overflow 0
		.amdhsa_workgroup_processor_mode 1
		.amdhsa_memory_ordered 1
		.amdhsa_forward_progress 0
		.amdhsa_shared_vgpr_count 0
		.amdhsa_exception_fp_ieee_invalid_op 0
		.amdhsa_exception_fp_denorm_src 0
		.amdhsa_exception_fp_ieee_div_zero 0
		.amdhsa_exception_fp_ieee_overflow 0
		.amdhsa_exception_fp_ieee_underflow 0
		.amdhsa_exception_fp_ieee_inexact 0
		.amdhsa_exception_int_div_zero 0
	.end_amdhsa_kernel
	.text
.Lfunc_end2:
	.size	_Z19non_max_supp_kernelPKhPhS0_ii, .Lfunc_end2-_Z19non_max_supp_kernelPKhPhS0_ii
                                        ; -- End function
	.section	.AMDGPU.csdata,"",@progbits
; Kernel info:
; codeLenInByte = 1588
; NumSgprs: 18
; NumVgprs: 14
; ScratchSize: 0
; MemoryBound: 0
; FloatMode: 240
; IeeeMode: 1
; LDSByteSize: 0 bytes/workgroup (compile time only)
; SGPRBlocks: 2
; VGPRBlocks: 1
; NumSGPRsForWavesPerEU: 18
; NumVGPRsForWavesPerEU: 14
; Occupancy: 16
; WaveLimiterHint : 0
; COMPUTE_PGM_RSRC2:SCRATCH_EN: 0
; COMPUTE_PGM_RSRC2:USER_SGPR: 14
; COMPUTE_PGM_RSRC2:TRAP_HANDLER: 0
; COMPUTE_PGM_RSRC2:TGID_X_EN: 1
; COMPUTE_PGM_RSRC2:TGID_Y_EN: 1
; COMPUTE_PGM_RSRC2:TGID_Z_EN: 0
; COMPUTE_PGM_RSRC2:TIDIG_COMP_CNT: 1
	.text
	.protected	_Z11hyst_kernelPKhPhii  ; -- Begin function _Z11hyst_kernelPKhPhii
	.globl	_Z11hyst_kernelPKhPhii
	.p2align	8
	.type	_Z11hyst_kernelPKhPhii,@function
_Z11hyst_kernelPKhPhii:                 ; @_Z11hyst_kernelPKhPhii
; %bb.0:
	s_clause 0x1
	s_load_b32 s5, s[0:1], 0x24
	s_load_b32 s4, s[0:1], 0x14
	v_bfe_u32 v1, v0, 10, 10
	v_and_b32_e32 v0, 0x3ff, v0
	s_waitcnt lgkmcnt(0)
	s_lshr_b32 s2, s5, 16
	s_and_b32 s5, s5, 0xffff
	v_mad_u64_u32 v[2:3], null, s15, s2, v[1:2]
	s_load_b128 s[0:3], s[0:1], 0x0
	v_mad_u64_u32 v[3:4], null, s14, s5, v[0:1]
	s_delay_alu instid0(VALU_DEP_2) | instskip(NEXT) | instid1(VALU_DEP_1)
	v_mad_u64_u32 v[0:1], null, s4, v2, s[4:5]
	v_add3_u32 v0, v3, v0, 1
	s_delay_alu instid0(VALU_DEP_1) | instskip(SKIP_3) | instid1(VALU_DEP_2)
	v_ashrrev_i32_e32 v1, 31, v0
	s_waitcnt lgkmcnt(0)
	v_add_co_u32 v2, vcc_lo, s0, v0
	s_mov_b32 s0, exec_lo
	v_add_co_ci_u32_e32 v3, vcc_lo, s1, v1, vcc_lo
	global_load_u8 v2, v[2:3], off
	s_waitcnt vmcnt(0)
	v_cmpx_gt_u16_e32 0x46, v2
	s_xor_b32 s1, exec_lo, s0
	s_cbranch_execnz .LBB3_3
; %bb.1:
	s_and_not1_saveexec_b32 s0, s1
	s_cbranch_execnz .LBB3_12
.LBB3_2:
	s_nop 0
	s_sendmsg sendmsg(MSG_DEALLOC_VGPRS)
	s_endpgm
.LBB3_3:
	s_mov_b32 s0, exec_lo
	v_cmpx_lt_u16_e32 10, v2
	s_xor_b32 s4, exec_lo, s0
	s_cbranch_execz .LBB3_9
; %bb.4:
	v_add_co_u32 v0, s0, s2, v0
	s_delay_alu instid0(VALU_DEP_1)
	v_add_co_ci_u32_e64 v1, s0, s3, v1, s0
	s_mov_b32 s0, exec_lo
	v_cmpx_gt_u16_e32 40, v2
	s_xor_b32 s0, exec_lo, s0
	s_cbranch_execz .LBB3_6
; %bb.5:
	v_mov_b32_e32 v2, 0
	global_store_b8 v[0:1], v2, off
                                        ; implicit-def: $vgpr0_vgpr1
.LBB3_6:
	s_and_not1_saveexec_b32 s0, s0
	s_cbranch_execz .LBB3_8
; %bb.7:
	v_mov_b32_e32 v2, 0xff
	global_store_b8 v[0:1], v2, off
.LBB3_8:
	s_or_b32 exec_lo, exec_lo, s0
                                        ; implicit-def: $vgpr0_vgpr1
.LBB3_9:
	s_and_not1_saveexec_b32 s0, s4
	s_cbranch_execz .LBB3_11
; %bb.10:
	v_add_co_u32 v0, vcc_lo, s2, v0
	v_add_co_ci_u32_e32 v1, vcc_lo, s3, v1, vcc_lo
	v_mov_b32_e32 v2, 0
	global_store_b8 v[0:1], v2, off
.LBB3_11:
	s_or_b32 exec_lo, exec_lo, s0
                                        ; implicit-def: $vgpr0_vgpr1
	s_and_not1_saveexec_b32 s0, s1
	s_cbranch_execz .LBB3_2
.LBB3_12:
	v_add_co_u32 v0, vcc_lo, s2, v0
	v_add_co_ci_u32_e32 v1, vcc_lo, s3, v1, vcc_lo
	v_mov_b32_e32 v2, 0xff
	global_store_b8 v[0:1], v2, off
	s_nop 0
	s_sendmsg sendmsg(MSG_DEALLOC_VGPRS)
	s_endpgm
	.section	.rodata,"a",@progbits
	.p2align	6, 0x0
	.amdhsa_kernel _Z11hyst_kernelPKhPhii
		.amdhsa_group_segment_fixed_size 0
		.amdhsa_private_segment_fixed_size 0
		.amdhsa_kernarg_size 280
		.amdhsa_user_sgpr_count 14
		.amdhsa_user_sgpr_dispatch_ptr 0
		.amdhsa_user_sgpr_queue_ptr 0
		.amdhsa_user_sgpr_kernarg_segment_ptr 1
		.amdhsa_user_sgpr_dispatch_id 0
		.amdhsa_user_sgpr_private_segment_size 0
		.amdhsa_wavefront_size32 1
		.amdhsa_uses_dynamic_stack 0
		.amdhsa_enable_private_segment 0
		.amdhsa_system_sgpr_workgroup_id_x 1
		.amdhsa_system_sgpr_workgroup_id_y 1
		.amdhsa_system_sgpr_workgroup_id_z 0
		.amdhsa_system_sgpr_workgroup_info 0
		.amdhsa_system_vgpr_workitem_id 1
		.amdhsa_next_free_vgpr 5
		.amdhsa_next_free_sgpr 16
		.amdhsa_reserve_vcc 1
		.amdhsa_float_round_mode_32 0
		.amdhsa_float_round_mode_16_64 0
		.amdhsa_float_denorm_mode_32 3
		.amdhsa_float_denorm_mode_16_64 3
		.amdhsa_dx10_clamp 1
		.amdhsa_ieee_mode 1
		.amdhsa_fp16_overflow 0
		.amdhsa_workgroup_processor_mode 1
		.amdhsa_memory_ordered 1
		.amdhsa_forward_progress 0
		.amdhsa_shared_vgpr_count 0
		.amdhsa_exception_fp_ieee_invalid_op 0
		.amdhsa_exception_fp_denorm_src 0
		.amdhsa_exception_fp_ieee_div_zero 0
		.amdhsa_exception_fp_ieee_overflow 0
		.amdhsa_exception_fp_ieee_underflow 0
		.amdhsa_exception_fp_ieee_inexact 0
		.amdhsa_exception_int_div_zero 0
	.end_amdhsa_kernel
	.text
.Lfunc_end3:
	.size	_Z11hyst_kernelPKhPhii, .Lfunc_end3-_Z11hyst_kernelPKhPhii
                                        ; -- End function
	.section	.AMDGPU.csdata,"",@progbits
; Kernel info:
; codeLenInByte = 348
; NumSgprs: 18
; NumVgprs: 5
; ScratchSize: 0
; MemoryBound: 0
; FloatMode: 240
; IeeeMode: 1
; LDSByteSize: 0 bytes/workgroup (compile time only)
; SGPRBlocks: 2
; VGPRBlocks: 0
; NumSGPRsForWavesPerEU: 18
; NumVGPRsForWavesPerEU: 5
; Occupancy: 16
; WaveLimiterHint : 0
; COMPUTE_PGM_RSRC2:SCRATCH_EN: 0
; COMPUTE_PGM_RSRC2:USER_SGPR: 14
; COMPUTE_PGM_RSRC2:TRAP_HANDLER: 0
; COMPUTE_PGM_RSRC2:TGID_X_EN: 1
; COMPUTE_PGM_RSRC2:TGID_Y_EN: 1
; COMPUTE_PGM_RSRC2:TGID_Z_EN: 0
; COMPUTE_PGM_RSRC2:TIDIG_COMP_CNT: 1
	.text
	.p2alignl 7, 3214868480
	.fill 96, 4, 3214868480
	.protected	c_gaus                  ; @c_gaus
	.type	c_gaus,@object
	.section	.rodata,"a",@progbits
	.globl	c_gaus
	.p2align	4, 0x0
c_gaus:
	.long	0x3d800000                      ; float 0.0625
	.long	0x3e000000                      ; float 0.125
	;; [unrolled: 1-line block ×9, first 2 shown]
	.size	c_gaus, 36

	.protected	c_sobx                  ; @c_sobx
	.type	c_sobx,@object
	.globl	c_sobx
	.p2align	4, 0x0
c_sobx:
	.long	4294967295                      ; 0xffffffff
	.long	0                               ; 0x0
	.long	1                               ; 0x1
	.long	4294967294                      ; 0xfffffffe
	.long	0                               ; 0x0
	.long	2                               ; 0x2
	;; [unrolled: 3-line block ×3, first 2 shown]
	.size	c_sobx, 36

	.protected	c_soby                  ; @c_soby
	.type	c_soby,@object
	.globl	c_soby
	.p2align	4, 0x0
c_soby:
	.long	4294967295                      ; 0xffffffff
	.long	4294967294                      ; 0xfffffffe
	;; [unrolled: 1-line block ×3, first 2 shown]
	.long	0                               ; 0x0
	.long	0                               ; 0x0
	;; [unrolled: 1-line block ×6, first 2 shown]
	.size	c_soby, 36

	.type	__hip_cuid_c09c1154f1a92917,@object ; @__hip_cuid_c09c1154f1a92917
	.section	.bss,"aw",@nobits
	.globl	__hip_cuid_c09c1154f1a92917
__hip_cuid_c09c1154f1a92917:
	.byte	0                               ; 0x0
	.size	__hip_cuid_c09c1154f1a92917, 1

	.ident	"AMD clang version 19.0.0git (https://github.com/RadeonOpenCompute/llvm-project roc-6.4.0 25133 c7fe45cf4b819c5991fe208aaa96edf142730f1d)"
	.section	".note.GNU-stack","",@progbits
	.addrsig
	.addrsig_sym c_gaus
	.addrsig_sym c_sobx
	.addrsig_sym c_soby
	.addrsig_sym __hip_cuid_c09c1154f1a92917
	.amdgpu_metadata
---
amdhsa.kernels:
  - .args:
      - .actual_access:  read_only
        .address_space:  global
        .offset:         0
        .size:           8
        .value_kind:     global_buffer
      - .actual_access:  write_only
        .address_space:  global
        .offset:         8
        .size:           8
        .value_kind:     global_buffer
      - .offset:         16
        .size:           4
        .value_kind:     by_value
      - .offset:         20
        .size:           4
        .value_kind:     by_value
      - .offset:         24
        .size:           4
        .value_kind:     hidden_block_count_x
      - .offset:         28
        .size:           4
        .value_kind:     hidden_block_count_y
      - .offset:         32
        .size:           4
        .value_kind:     hidden_block_count_z
      - .offset:         36
        .size:           2
        .value_kind:     hidden_group_size_x
      - .offset:         38
        .size:           2
        .value_kind:     hidden_group_size_y
      - .offset:         40
        .size:           2
        .value_kind:     hidden_group_size_z
      - .offset:         42
        .size:           2
        .value_kind:     hidden_remainder_x
      - .offset:         44
        .size:           2
        .value_kind:     hidden_remainder_y
      - .offset:         46
        .size:           2
        .value_kind:     hidden_remainder_z
      - .offset:         64
        .size:           8
        .value_kind:     hidden_global_offset_x
      - .offset:         72
        .size:           8
        .value_kind:     hidden_global_offset_y
      - .offset:         80
        .size:           8
        .value_kind:     hidden_global_offset_z
      - .offset:         88
        .size:           2
        .value_kind:     hidden_grid_dims
      - .offset:         144
        .size:           4
        .value_kind:     hidden_dynamic_lds_size
    .group_segment_fixed_size: 0
    .kernarg_segment_align: 8
    .kernarg_segment_size: 280
    .language:       OpenCL C
    .language_version:
      - 2
      - 0
    .max_flat_workgroup_size: 1024
    .name:           _Z15gaussian_kernelPKhPhii
    .private_segment_fixed_size: 0
    .sgpr_count:     18
    .sgpr_spill_count: 0
    .symbol:         _Z15gaussian_kernelPKhPhii.kd
    .uniform_work_group_size: 1
    .uses_dynamic_stack: false
    .vgpr_count:     15
    .vgpr_spill_count: 0
    .wavefront_size: 32
    .workgroup_processor_mode: 1
  - .args:
      - .actual_access:  read_only
        .address_space:  global
        .offset:         0
        .size:           8
        .value_kind:     global_buffer
      - .actual_access:  write_only
        .address_space:  global
        .offset:         8
        .size:           8
        .value_kind:     global_buffer
      - .actual_access:  write_only
        .address_space:  global
        .offset:         16
        .size:           8
        .value_kind:     global_buffer
      - .offset:         24
        .size:           4
        .value_kind:     by_value
      - .offset:         28
        .size:           4
        .value_kind:     by_value
      - .offset:         32
        .size:           4
        .value_kind:     hidden_block_count_x
      - .offset:         36
        .size:           4
        .value_kind:     hidden_block_count_y
      - .offset:         40
        .size:           4
        .value_kind:     hidden_block_count_z
      - .offset:         44
        .size:           2
        .value_kind:     hidden_group_size_x
      - .offset:         46
        .size:           2
        .value_kind:     hidden_group_size_y
      - .offset:         48
        .size:           2
        .value_kind:     hidden_group_size_z
      - .offset:         50
        .size:           2
        .value_kind:     hidden_remainder_x
      - .offset:         52
        .size:           2
        .value_kind:     hidden_remainder_y
      - .offset:         54
        .size:           2
        .value_kind:     hidden_remainder_z
      - .offset:         72
        .size:           8
        .value_kind:     hidden_global_offset_x
      - .offset:         80
        .size:           8
        .value_kind:     hidden_global_offset_y
      - .offset:         88
        .size:           8
        .value_kind:     hidden_global_offset_z
      - .offset:         96
        .size:           2
        .value_kind:     hidden_grid_dims
      - .offset:         152
        .size:           4
        .value_kind:     hidden_dynamic_lds_size
    .group_segment_fixed_size: 0
    .kernarg_segment_align: 8
    .kernarg_segment_size: 288
    .language:       OpenCL C
    .language_version:
      - 2
      - 0
    .max_flat_workgroup_size: 1024
    .name:           _Z12sobel_kernelPKhPhS1_ii
    .private_segment_fixed_size: 0
    .sgpr_count:     28
    .sgpr_spill_count: 0
    .symbol:         _Z12sobel_kernelPKhPhS1_ii.kd
    .uniform_work_group_size: 1
    .uses_dynamic_stack: false
    .vgpr_count:     17
    .vgpr_spill_count: 0
    .wavefront_size: 32
    .workgroup_processor_mode: 1
  - .args:
      - .actual_access:  read_only
        .address_space:  global
        .offset:         0
        .size:           8
        .value_kind:     global_buffer
      - .actual_access:  write_only
        .address_space:  global
        .offset:         8
        .size:           8
        .value_kind:     global_buffer
      - .actual_access:  read_only
        .address_space:  global
        .offset:         16
        .size:           8
        .value_kind:     global_buffer
      - .offset:         24
        .size:           4
        .value_kind:     by_value
      - .offset:         28
        .size:           4
        .value_kind:     by_value
      - .offset:         32
        .size:           4
        .value_kind:     hidden_block_count_x
      - .offset:         36
        .size:           4
        .value_kind:     hidden_block_count_y
      - .offset:         40
        .size:           4
        .value_kind:     hidden_block_count_z
      - .offset:         44
        .size:           2
        .value_kind:     hidden_group_size_x
      - .offset:         46
        .size:           2
        .value_kind:     hidden_group_size_y
      - .offset:         48
        .size:           2
        .value_kind:     hidden_group_size_z
      - .offset:         50
        .size:           2
        .value_kind:     hidden_remainder_x
      - .offset:         52
        .size:           2
        .value_kind:     hidden_remainder_y
      - .offset:         54
        .size:           2
        .value_kind:     hidden_remainder_z
      - .offset:         72
        .size:           8
        .value_kind:     hidden_global_offset_x
      - .offset:         80
        .size:           8
        .value_kind:     hidden_global_offset_y
      - .offset:         88
        .size:           8
        .value_kind:     hidden_global_offset_z
      - .offset:         96
        .size:           2
        .value_kind:     hidden_grid_dims
      - .offset:         152
        .size:           4
        .value_kind:     hidden_dynamic_lds_size
    .group_segment_fixed_size: 0
    .kernarg_segment_align: 8
    .kernarg_segment_size: 288
    .language:       OpenCL C
    .language_version:
      - 2
      - 0
    .max_flat_workgroup_size: 1024
    .name:           _Z19non_max_supp_kernelPKhPhS0_ii
    .private_segment_fixed_size: 0
    .sgpr_count:     18
    .sgpr_spill_count: 0
    .symbol:         _Z19non_max_supp_kernelPKhPhS0_ii.kd
    .uniform_work_group_size: 1
    .uses_dynamic_stack: false
    .vgpr_count:     14
    .vgpr_spill_count: 0
    .wavefront_size: 32
    .workgroup_processor_mode: 1
  - .args:
      - .actual_access:  read_only
        .address_space:  global
        .offset:         0
        .size:           8
        .value_kind:     global_buffer
      - .actual_access:  write_only
        .address_space:  global
        .offset:         8
        .size:           8
        .value_kind:     global_buffer
      - .offset:         16
        .size:           4
        .value_kind:     by_value
      - .offset:         20
        .size:           4
        .value_kind:     by_value
      - .offset:         24
        .size:           4
        .value_kind:     hidden_block_count_x
      - .offset:         28
        .size:           4
        .value_kind:     hidden_block_count_y
      - .offset:         32
        .size:           4
        .value_kind:     hidden_block_count_z
      - .offset:         36
        .size:           2
        .value_kind:     hidden_group_size_x
      - .offset:         38
        .size:           2
        .value_kind:     hidden_group_size_y
      - .offset:         40
        .size:           2
        .value_kind:     hidden_group_size_z
      - .offset:         42
        .size:           2
        .value_kind:     hidden_remainder_x
      - .offset:         44
        .size:           2
        .value_kind:     hidden_remainder_y
      - .offset:         46
        .size:           2
        .value_kind:     hidden_remainder_z
      - .offset:         64
        .size:           8
        .value_kind:     hidden_global_offset_x
      - .offset:         72
        .size:           8
        .value_kind:     hidden_global_offset_y
      - .offset:         80
        .size:           8
        .value_kind:     hidden_global_offset_z
      - .offset:         88
        .size:           2
        .value_kind:     hidden_grid_dims
    .group_segment_fixed_size: 0
    .kernarg_segment_align: 8
    .kernarg_segment_size: 280
    .language:       OpenCL C
    .language_version:
      - 2
      - 0
    .max_flat_workgroup_size: 1024
    .name:           _Z11hyst_kernelPKhPhii
    .private_segment_fixed_size: 0
    .sgpr_count:     18
    .sgpr_spill_count: 0
    .symbol:         _Z11hyst_kernelPKhPhii.kd
    .uniform_work_group_size: 1
    .uses_dynamic_stack: false
    .vgpr_count:     5
    .vgpr_spill_count: 0
    .wavefront_size: 32
    .workgroup_processor_mode: 1
amdhsa.target:   amdgcn-amd-amdhsa--gfx1100
amdhsa.version:
  - 1
  - 2
...

	.end_amdgpu_metadata
